;; amdgpu-corpus repo=ROCm/rocFFT kind=compiled arch=gfx1030 opt=O3
	.text
	.amdgcn_target "amdgcn-amd-amdhsa--gfx1030"
	.amdhsa_code_object_version 6
	.protected	fft_rtc_fwd_len192_factors_6_4_4_2_wgs_128_tpt_16_halfLds_sp_ip_CI_unitstride_sbrr_R2C_dirReg ; -- Begin function fft_rtc_fwd_len192_factors_6_4_4_2_wgs_128_tpt_16_halfLds_sp_ip_CI_unitstride_sbrr_R2C_dirReg
	.globl	fft_rtc_fwd_len192_factors_6_4_4_2_wgs_128_tpt_16_halfLds_sp_ip_CI_unitstride_sbrr_R2C_dirReg
	.p2align	8
	.type	fft_rtc_fwd_len192_factors_6_4_4_2_wgs_128_tpt_16_halfLds_sp_ip_CI_unitstride_sbrr_R2C_dirReg,@function
fft_rtc_fwd_len192_factors_6_4_4_2_wgs_128_tpt_16_halfLds_sp_ip_CI_unitstride_sbrr_R2C_dirReg: ; @fft_rtc_fwd_len192_factors_6_4_4_2_wgs_128_tpt_16_halfLds_sp_ip_CI_unitstride_sbrr_R2C_dirReg
; %bb.0:
	s_clause 0x2
	s_load_dwordx4 s[8:11], s[4:5], 0x0
	s_load_dwordx2 s[2:3], s[4:5], 0x50
	s_load_dwordx2 s[12:13], s[4:5], 0x18
	v_lshrrev_b32_e32 v15, 4, v0
	v_mov_b32_e32 v3, 0
	v_mov_b32_e32 v1, 0
	;; [unrolled: 1-line block ×3, first 2 shown]
	v_lshl_or_b32 v5, s6, 3, v15
	v_mov_b32_e32 v6, v3
	s_waitcnt lgkmcnt(0)
	v_cmp_lt_u64_e64 s0, s[10:11], 2
	s_and_b32 vcc_lo, exec_lo, s0
	s_cbranch_vccnz .LBB0_8
; %bb.1:
	s_load_dwordx2 s[0:1], s[4:5], 0x10
	v_mov_b32_e32 v1, 0
	s_add_u32 s6, s12, 8
	v_mov_b32_e32 v2, 0
	s_addc_u32 s7, s13, 0
	s_mov_b64 s[16:17], 1
	s_waitcnt lgkmcnt(0)
	s_add_u32 s14, s0, 8
	s_addc_u32 s15, s1, 0
.LBB0_2:                                ; =>This Inner Loop Header: Depth=1
	s_load_dwordx2 s[18:19], s[14:15], 0x0
                                        ; implicit-def: $vgpr13_vgpr14
	s_mov_b32 s0, exec_lo
	s_waitcnt lgkmcnt(0)
	v_or_b32_e32 v4, s19, v6
	v_cmpx_ne_u64_e32 0, v[3:4]
	s_xor_b32 s1, exec_lo, s0
	s_cbranch_execz .LBB0_4
; %bb.3:                                ;   in Loop: Header=BB0_2 Depth=1
	v_cvt_f32_u32_e32 v4, s18
	v_cvt_f32_u32_e32 v7, s19
	s_sub_u32 s0, 0, s18
	s_subb_u32 s20, 0, s19
	v_fmac_f32_e32 v4, 0x4f800000, v7
	v_rcp_f32_e32 v4, v4
	v_mul_f32_e32 v4, 0x5f7ffffc, v4
	v_mul_f32_e32 v7, 0x2f800000, v4
	v_trunc_f32_e32 v7, v7
	v_fmac_f32_e32 v4, 0xcf800000, v7
	v_cvt_u32_f32_e32 v7, v7
	v_cvt_u32_f32_e32 v4, v4
	v_mul_lo_u32 v8, s0, v7
	v_mul_hi_u32 v9, s0, v4
	v_mul_lo_u32 v10, s20, v4
	v_add_nc_u32_e32 v8, v9, v8
	v_mul_lo_u32 v9, s0, v4
	v_add_nc_u32_e32 v8, v8, v10
	v_mul_hi_u32 v10, v4, v9
	v_mul_lo_u32 v11, v4, v8
	v_mul_hi_u32 v12, v4, v8
	v_mul_hi_u32 v13, v7, v9
	v_mul_lo_u32 v9, v7, v9
	v_mul_hi_u32 v14, v7, v8
	v_mul_lo_u32 v8, v7, v8
	v_add_co_u32 v10, vcc_lo, v10, v11
	v_add_co_ci_u32_e32 v11, vcc_lo, 0, v12, vcc_lo
	v_add_co_u32 v9, vcc_lo, v10, v9
	v_add_co_ci_u32_e32 v9, vcc_lo, v11, v13, vcc_lo
	v_add_co_ci_u32_e32 v10, vcc_lo, 0, v14, vcc_lo
	v_add_co_u32 v8, vcc_lo, v9, v8
	v_add_co_ci_u32_e32 v9, vcc_lo, 0, v10, vcc_lo
	v_add_co_u32 v4, vcc_lo, v4, v8
	v_add_co_ci_u32_e32 v7, vcc_lo, v7, v9, vcc_lo
	v_mul_hi_u32 v8, s0, v4
	v_mul_lo_u32 v10, s20, v4
	v_mul_lo_u32 v9, s0, v7
	v_add_nc_u32_e32 v8, v8, v9
	v_mul_lo_u32 v9, s0, v4
	v_add_nc_u32_e32 v8, v8, v10
	v_mul_hi_u32 v10, v4, v9
	v_mul_lo_u32 v11, v4, v8
	v_mul_hi_u32 v12, v4, v8
	v_mul_hi_u32 v13, v7, v9
	v_mul_lo_u32 v9, v7, v9
	v_mul_hi_u32 v14, v7, v8
	v_mul_lo_u32 v8, v7, v8
	v_add_co_u32 v10, vcc_lo, v10, v11
	v_add_co_ci_u32_e32 v11, vcc_lo, 0, v12, vcc_lo
	v_add_co_u32 v9, vcc_lo, v10, v9
	v_add_co_ci_u32_e32 v9, vcc_lo, v11, v13, vcc_lo
	v_add_co_ci_u32_e32 v10, vcc_lo, 0, v14, vcc_lo
	v_add_co_u32 v8, vcc_lo, v9, v8
	v_add_co_ci_u32_e32 v9, vcc_lo, 0, v10, vcc_lo
	v_add_co_u32 v4, vcc_lo, v4, v8
	v_add_co_ci_u32_e32 v11, vcc_lo, v7, v9, vcc_lo
	v_mul_hi_u32 v13, v5, v4
	v_mad_u64_u32 v[9:10], null, v6, v4, 0
	v_mad_u64_u32 v[7:8], null, v5, v11, 0
	;; [unrolled: 1-line block ×3, first 2 shown]
	v_add_co_u32 v4, vcc_lo, v13, v7
	v_add_co_ci_u32_e32 v7, vcc_lo, 0, v8, vcc_lo
	v_add_co_u32 v4, vcc_lo, v4, v9
	v_add_co_ci_u32_e32 v4, vcc_lo, v7, v10, vcc_lo
	v_add_co_ci_u32_e32 v7, vcc_lo, 0, v12, vcc_lo
	v_add_co_u32 v4, vcc_lo, v4, v11
	v_add_co_ci_u32_e32 v9, vcc_lo, 0, v7, vcc_lo
	v_mul_lo_u32 v10, s19, v4
	v_mad_u64_u32 v[7:8], null, s18, v4, 0
	v_mul_lo_u32 v11, s18, v9
	v_sub_co_u32 v7, vcc_lo, v5, v7
	v_add3_u32 v8, v8, v11, v10
	v_sub_nc_u32_e32 v10, v6, v8
	v_subrev_co_ci_u32_e64 v10, s0, s19, v10, vcc_lo
	v_add_co_u32 v11, s0, v4, 2
	v_add_co_ci_u32_e64 v12, s0, 0, v9, s0
	v_sub_co_u32 v13, s0, v7, s18
	v_sub_co_ci_u32_e32 v8, vcc_lo, v6, v8, vcc_lo
	v_subrev_co_ci_u32_e64 v10, s0, 0, v10, s0
	v_cmp_le_u32_e32 vcc_lo, s18, v13
	v_cmp_eq_u32_e64 s0, s19, v8
	v_cndmask_b32_e64 v13, 0, -1, vcc_lo
	v_cmp_le_u32_e32 vcc_lo, s19, v10
	v_cndmask_b32_e64 v14, 0, -1, vcc_lo
	v_cmp_le_u32_e32 vcc_lo, s18, v7
	;; [unrolled: 2-line block ×3, first 2 shown]
	v_cndmask_b32_e64 v16, 0, -1, vcc_lo
	v_cmp_eq_u32_e32 vcc_lo, s19, v10
	v_cndmask_b32_e64 v7, v16, v7, s0
	v_cndmask_b32_e32 v10, v14, v13, vcc_lo
	v_add_co_u32 v13, vcc_lo, v4, 1
	v_add_co_ci_u32_e32 v14, vcc_lo, 0, v9, vcc_lo
	v_cmp_ne_u32_e32 vcc_lo, 0, v10
	v_cndmask_b32_e32 v8, v14, v12, vcc_lo
	v_cndmask_b32_e32 v10, v13, v11, vcc_lo
	v_cmp_ne_u32_e32 vcc_lo, 0, v7
	v_cndmask_b32_e32 v14, v9, v8, vcc_lo
	v_cndmask_b32_e32 v13, v4, v10, vcc_lo
.LBB0_4:                                ;   in Loop: Header=BB0_2 Depth=1
	s_andn2_saveexec_b32 s0, s1
	s_cbranch_execz .LBB0_6
; %bb.5:                                ;   in Loop: Header=BB0_2 Depth=1
	v_cvt_f32_u32_e32 v4, s18
	s_sub_i32 s1, 0, s18
	v_mov_b32_e32 v14, v3
	v_rcp_iflag_f32_e32 v4, v4
	v_mul_f32_e32 v4, 0x4f7ffffe, v4
	v_cvt_u32_f32_e32 v4, v4
	v_mul_lo_u32 v7, s1, v4
	v_mul_hi_u32 v7, v4, v7
	v_add_nc_u32_e32 v4, v4, v7
	v_mul_hi_u32 v4, v5, v4
	v_mul_lo_u32 v7, v4, s18
	v_add_nc_u32_e32 v8, 1, v4
	v_sub_nc_u32_e32 v7, v5, v7
	v_subrev_nc_u32_e32 v9, s18, v7
	v_cmp_le_u32_e32 vcc_lo, s18, v7
	v_cndmask_b32_e32 v7, v7, v9, vcc_lo
	v_cndmask_b32_e32 v4, v4, v8, vcc_lo
	v_cmp_le_u32_e32 vcc_lo, s18, v7
	v_add_nc_u32_e32 v8, 1, v4
	v_cndmask_b32_e32 v13, v4, v8, vcc_lo
.LBB0_6:                                ;   in Loop: Header=BB0_2 Depth=1
	s_or_b32 exec_lo, exec_lo, s0
	s_load_dwordx2 s[0:1], s[6:7], 0x0
	v_mul_lo_u32 v4, v14, s18
	v_mul_lo_u32 v9, v13, s19
	v_mad_u64_u32 v[7:8], null, v13, s18, 0
	s_add_u32 s16, s16, 1
	s_addc_u32 s17, s17, 0
	s_add_u32 s6, s6, 8
	s_addc_u32 s7, s7, 0
	;; [unrolled: 2-line block ×3, first 2 shown]
	v_add3_u32 v4, v8, v9, v4
	v_sub_co_u32 v5, vcc_lo, v5, v7
	v_sub_co_ci_u32_e32 v4, vcc_lo, v6, v4, vcc_lo
	s_waitcnt lgkmcnt(0)
	v_mul_lo_u32 v6, s1, v5
	v_mul_lo_u32 v4, s0, v4
	v_mad_u64_u32 v[1:2], null, s0, v5, v[1:2]
	v_cmp_ge_u64_e64 s0, s[16:17], s[10:11]
	s_and_b32 vcc_lo, exec_lo, s0
	v_add3_u32 v2, v6, v2, v4
	s_cbranch_vccnz .LBB0_9
; %bb.7:                                ;   in Loop: Header=BB0_2 Depth=1
	v_mov_b32_e32 v5, v13
	v_mov_b32_e32 v6, v14
	s_branch .LBB0_2
.LBB0_8:
	v_mov_b32_e32 v14, v6
	v_mov_b32_e32 v13, v5
.LBB0_9:
	s_lshl_b64 s[0:1], s[10:11], 3
	v_and_b32_e32 v0, 15, v0
	s_add_u32 s0, s12, s0
	s_addc_u32 s1, s13, s1
	s_load_dwordx2 s[0:1], s[0:1], 0x0
	s_load_dwordx2 s[4:5], s[4:5], 0x20
	v_or_b32_e32 v4, 16, v0
	v_or_b32_e32 v10, 48, v0
	;; [unrolled: 1-line block ×4, first 2 shown]
	s_waitcnt lgkmcnt(0)
	v_mul_lo_u32 v5, s0, v14
	v_mul_lo_u32 v6, s1, v13
	v_mad_u64_u32 v[2:3], null, s0, v13, v[1:2]
	v_cmp_gt_u64_e32 vcc_lo, s[4:5], v[13:14]
	v_cmp_le_u64_e64 s0, s[4:5], v[13:14]
	v_add3_u32 v3, v6, v3, v5
	v_or_b32_e32 v6, 0x50, v0
	s_and_saveexec_b32 s1, s0
	s_xor_b32 s0, exec_lo, s1
; %bb.10:
	v_mov_b32_e32 v1, 0
	v_or_b32_e32 v4, 16, v0
	v_or_b32_e32 v10, 48, v0
	;; [unrolled: 1-line block ×5, first 2 shown]
	v_mov_b32_e32 v5, v1
	v_mov_b32_e32 v13, v1
	;; [unrolled: 1-line block ×5, first 2 shown]
; %bb.11:
	s_or_saveexec_b32 s1, s0
	v_mul_u32_u24_e32 v14, 0xc1, v15
	v_lshlrev_b64 v[2:3], 3, v[2:3]
	v_lshlrev_b32_e32 v22, 3, v0
	v_lshlrev_b32_e32 v14, 3, v14
	s_xor_b32 exec_lo, exec_lo, s1
	s_cbranch_execz .LBB0_13
; %bb.12:
	v_add_co_u32 v1, s0, s2, v2
	v_add_co_ci_u32_e64 v5, s0, s3, v3, s0
	v_add3_u32 v21, 0, v14, v22
	v_add_co_u32 v15, s0, v1, v22
	v_add_co_ci_u32_e64 v16, s0, 0, v5, s0
	v_mov_b32_e32 v1, 0
	s_clause 0xb
	global_load_dwordx2 v[17:18], v[15:16], off
	global_load_dwordx2 v[19:20], v[15:16], off offset:128
	global_load_dwordx2 v[23:24], v[15:16], off offset:256
	;; [unrolled: 1-line block ×11, first 2 shown]
	s_waitcnt vmcnt(10)
	ds_write2_b64 v21, v[17:18], v[19:20] offset1:16
	s_waitcnt vmcnt(8)
	ds_write2_b64 v21, v[23:24], v[25:26] offset0:32 offset1:48
	s_waitcnt vmcnt(6)
	ds_write2_b64 v21, v[27:28], v[29:30] offset0:64 offset1:80
	;; [unrolled: 2-line block ×5, first 2 shown]
	v_mov_b32_e32 v5, v1
	v_mov_b32_e32 v13, v1
	;; [unrolled: 1-line block ×5, first 2 shown]
.LBB0_13:
	s_or_b32 exec_lo, exec_lo, s1
	v_add_nc_u32_e32 v24, 0, v14
	v_add3_u32 v18, 0, v22, v14
	s_waitcnt lgkmcnt(0)
	s_barrier
	buffer_gl0_inv
	v_add_nc_u32_e32 v23, v24, v22
	ds_read2_b64 v[14:17], v18 offset0:48 offset1:64
	ds_read2_b64 v[25:28], v18 offset0:112 offset1:128
	ds_read2_b64 v[29:32], v18 offset0:16 offset1:32
	ds_read2_b64 v[33:36], v18 offset0:80 offset1:96
	ds_read2_b64 v[37:40], v18 offset0:144 offset1:160
	ds_read_b64 v[19:20], v23
	ds_read_b64 v[41:42], v18 offset:1408
	s_waitcnt lgkmcnt(0)
	s_barrier
	buffer_gl0_inv
	v_cmp_gt_u32_e64 s0, 24, v4
	v_add_f32_e32 v49, v32, v36
	v_sub_f32_e32 v48, v36, v40
	v_add_f32_e32 v36, v36, v40
	v_add_f32_e32 v21, v16, v27
	v_sub_f32_e32 v45, v16, v27
	v_add_f32_e32 v46, v31, v35
	;; [unrolled: 3-line block ×3, first 2 shown]
	v_fma_f32 v32, -0.5, v36, v32
	v_add_f32_e32 v44, v17, v28
	v_fma_f32 v31, -0.5, v47, v31
	v_sub_f32_e32 v43, v17, v28
	v_add_f32_e32 v36, v16, v27
	v_fmamk_f32 v27, v35, 0xbf5db3d7, v32
	v_fma_f32 v19, -0.5, v21, v19
	v_add_f32_e32 v17, v20, v17
	v_fmac_f32_e32 v20, -0.5, v44
	v_add_f32_e32 v21, v46, v39
	v_fmamk_f32 v16, v48, 0x3f5db3d7, v31
	v_mul_f32_e32 v46, 0x3f5db3d7, v27
	v_add_f32_e32 v40, v49, v40
	v_fmamk_f32 v39, v43, 0x3f5db3d7, v19
	v_fmac_f32_e32 v19, 0xbf5db3d7, v43
	v_add_f32_e32 v43, v17, v28
	v_fmamk_f32 v44, v45, 0xbf5db3d7, v20
	v_fmac_f32_e32 v32, 0x3f5db3d7, v35
	v_fmac_f32_e32 v20, 0x3f5db3d7, v45
	v_mul_f32_e32 v45, 0xbf5db3d7, v16
	v_fmac_f32_e32 v46, 0.5, v16
	v_add_f32_e32 v16, v36, v21
	v_sub_f32_e32 v35, v36, v21
	v_add_f32_e32 v21, v33, v37
	v_fmac_f32_e32 v45, 0.5, v27
	v_add_f32_e32 v17, v43, v40
	v_sub_f32_e32 v36, v43, v40
	v_add_f32_e32 v43, v29, v33
	v_fma_f32 v21, -0.5, v21, v29
	v_sub_f32_e32 v29, v34, v38
	v_add_f32_e32 v28, v44, v45
	v_sub_f32_e32 v40, v44, v45
	v_add_f32_e32 v44, v34, v38
	v_add_f32_e32 v43, v43, v37
	v_fmamk_f32 v45, v29, 0x3f5db3d7, v21
	v_fmac_f32_e32 v21, 0xbf5db3d7, v29
	v_add_f32_e32 v29, v25, v41
	v_add_f32_e32 v34, v30, v34
	v_fmac_f32_e32 v30, -0.5, v44
	v_add_f32_e32 v44, v26, v42
	v_sub_f32_e32 v33, v33, v37
	v_fma_f32 v29, -0.5, v29, v14
	v_sub_f32_e32 v37, v26, v42
	v_fmac_f32_e32 v31, 0xbf5db3d7, v48
	v_mul_f32_e32 v48, -0.5, v32
	v_add_f32_e32 v26, v15, v26
	v_fmac_f32_e32 v15, -0.5, v44
	v_sub_f32_e32 v44, v25, v41
	v_add_f32_e32 v14, v14, v25
	v_fmamk_f32 v25, v37, 0x3f5db3d7, v29
	v_fmac_f32_e32 v29, 0xbf5db3d7, v37
	v_mul_f32_e32 v47, -0.5, v31
	v_fmac_f32_e32 v48, 0xbf5db3d7, v31
	v_add_f32_e32 v38, v34, v38
	v_fmamk_f32 v34, v44, 0xbf5db3d7, v15
	v_fmac_f32_e32 v15, 0x3f5db3d7, v44
	v_mul_f32_e32 v44, -0.5, v29
	v_fmac_f32_e32 v47, 0x3f5db3d7, v32
	v_add_f32_e32 v32, v20, v48
	v_sub_f32_e32 v20, v20, v48
	v_mul_f32_e32 v48, -0.5, v15
	v_fmac_f32_e32 v44, 0x3f5db3d7, v15
	v_add_f32_e32 v27, v39, v46
	v_sub_f32_e32 v39, v39, v46
	v_fmamk_f32 v46, v33, 0xbf5db3d7, v30
	v_fmac_f32_e32 v30, 0x3f5db3d7, v33
	v_add_f32_e32 v37, v14, v41
	v_mul_f32_e32 v41, 0x3f5db3d7, v34
	v_fmac_f32_e32 v48, 0xbf5db3d7, v29
	v_add_f32_e32 v33, v21, v44
	v_sub_f32_e32 v29, v21, v44
	v_mul_lo_u16 v21, v0, 43
	v_fmac_f32_e32 v41, 0.5, v25
	v_add_f32_e32 v31, v19, v47
	v_sub_f32_e32 v19, v19, v47
	v_mul_f32_e32 v47, 0xbf5db3d7, v25
	v_lshrrev_b16 v53, 8, v21
	v_add_f32_e32 v25, v45, v41
	v_sub_f32_e32 v41, v45, v41
	v_and_b32_e32 v21, 0xff, v4
	v_add_f32_e32 v42, v26, v42
	v_mul_lo_u16 v45, v53, 6
	v_add_f32_e32 v14, v43, v37
	v_fmac_f32_e32 v47, 0.5, v34
	v_sub_f32_e32 v37, v43, v37
	v_mad_u32_u24 v43, v0, 40, v18
	v_mul_i32_i24_e32 v44, 6, v4
	v_mul_lo_u16 v21, 0xab, v21
	v_sub_nc_u16 v54, v0, v45
	v_add_f32_e32 v15, v38, v42
	v_add_f32_e32 v26, v46, v47
	ds_write2_b64 v43, v[16:17], v[27:28] offset1:1
	v_lshl_add_u32 v28, v44, 3, v24
	v_lshrrev_b16 v55, 10, v21
	ds_write2_b64 v43, v[31:32], v[35:36] offset0:2 offset1:3
	ds_write2_b64 v43, v[39:40], v[19:20] offset0:4 offset1:5
	ds_write2_b64 v28, v[14:15], v[25:26] offset1:1
	v_mul_lo_u16 v14, v54, 3
	v_mov_b32_e32 v19, 3
	v_and_b32_e32 v21, 0xff, v12
	v_add_f32_e32 v34, v30, v48
	v_sub_f32_e32 v38, v38, v42
	v_mul_lo_u16 v15, v55, 6
	v_lshlrev_b32_sdwa v20, v19, v14 dst_sel:DWORD dst_unused:UNUSED_PAD src0_sel:DWORD src1_sel:BYTE_0
	v_sub_f32_e32 v42, v46, v47
	v_sub_f32_e32 v30, v30, v48
	v_mul_lo_u16 v21, 0xab, v21
	ds_write2_b64 v28, v[33:34], v[37:38] offset0:2 offset1:3
	ds_write2_b64 v28, v[41:42], v[29:30] offset0:4 offset1:5
	s_waitcnt lgkmcnt(0)
	v_sub_nc_u16 v56, v4, v15
	s_barrier
	buffer_gl0_inv
	global_load_dwordx4 v[14:17], v20, s[8:9]
	v_lshrrev_b16 v57, 10, v21
	v_mul_lo_u16 v25, v56, 3
	v_lshl_add_u32 v27, v10, 3, v24
	v_lshl_add_u32 v26, v8, 3, v24
	v_lshlrev_b64 v[8:9], 3, v[8:9]
	v_mul_lo_u16 v21, v57, 6
	v_lshlrev_b32_sdwa v25, v19, v25 dst_sel:DWORD dst_unused:UNUSED_PAD src0_sel:DWORD src1_sel:BYTE_0
	v_sub_nc_u16 v58, v12, v21
	global_load_dwordx4 v[29:32], v25, s[8:9]
	v_mul_lo_u16 v21, v58, 3
	v_lshlrev_b32_sdwa v19, v19, v21 dst_sel:DWORD dst_unused:UNUSED_PAD src0_sel:DWORD src1_sel:BYTE_0
	s_clause 0x3
	global_load_dwordx2 v[20:21], v20, s[8:9] offset:16
	global_load_dwordx4 v[33:36], v19, s[8:9]
	global_load_dwordx2 v[45:46], v25, s[8:9] offset:16
	global_load_dwordx2 v[47:48], v19, s[8:9] offset:16
	ds_read_b64 v[41:42], v27
	ds_read2_b64 v[37:40], v18 offset0:96 offset1:112
	v_mad_i32_i24 v19, 0xffffffd8, v4, v28
	ds_read_b64 v[49:50], v26
	ds_read_b64 v[51:52], v19
	v_lshl_add_u32 v28, v12, 3, v24
	s_waitcnt vmcnt(5) lgkmcnt(3)
	v_mul_f32_e32 v25, v15, v42
	v_mul_f32_e32 v59, v15, v41
	s_waitcnt lgkmcnt(2)
	v_mul_f32_e32 v15, v17, v38
	v_mul_f32_e32 v60, v17, v37
	v_fma_f32 v61, v14, v41, -v25
	v_fmac_f32_e32 v59, v14, v42
	ds_read2_b64 v[41:44], v18 offset0:128 offset1:144
	v_lshl_add_u32 v25, v6, 3, v24
	v_fma_f32 v62, v16, v37, -v15
	v_fmac_f32_e32 v60, v16, v38
	v_mul_lo_u16 v16, v55, 24
	s_waitcnt vmcnt(4)
	v_mul_f32_e32 v14, v40, v32
	v_mul_f32_e32 v32, v39, v32
	s_waitcnt lgkmcnt(2)
	v_mul_f32_e32 v15, v30, v50
	v_mul_f32_e32 v64, v30, v49
	v_fma_f32 v63, v39, v31, -v14
	v_fmac_f32_e32 v32, v40, v31
	ds_read_b64 v[30:31], v25
	v_mul_lo_u16 v14, v53, 24
	v_fma_f32 v49, v29, v49, -v15
	v_fmac_f32_e32 v64, v29, v50
	ds_read_b64 v[37:38], v23
	ds_read_b64 v[39:40], v28
	v_or_b32_e32 v53, v16, v56
	v_or_b32_e32 v50, v14, v54
	v_add_nc_u32_e32 v29, -8, v0
	s_waitcnt vmcnt(3) lgkmcnt(3)
	v_mul_f32_e32 v14, v21, v44
	s_waitcnt vmcnt(2)
	v_mul_f32_e32 v15, v42, v36
	v_mul_f32_e32 v54, v21, v43
	v_mul_f32_e32 v36, v41, v36
	v_mul_lo_u16 v21, v57, 24
	v_fma_f32 v43, v20, v43, -v14
	v_fma_f32 v41, v41, v35, -v15
	ds_read2_b64 v[14:17], v18 offset0:160 offset1:176
	v_fmac_f32_e32 v54, v20, v44
	v_cndmask_b32_e64 v57, v29, v4, s0
	v_or_b32_e32 v29, v21, v58
	v_fmac_f32_e32 v36, v42, v35
	s_waitcnt lgkmcnt(3)
	v_mul_f32_e32 v20, v31, v34
	v_mul_f32_e32 v34, v30, v34
	v_mul_u32_u24_e32 v35, 3, v0
	v_and_b32_e32 v29, 0xff, v29
	s_waitcnt lgkmcnt(2)
	v_sub_f32_e32 v42, v38, v60
	v_fma_f32 v30, v30, v33, -v20
	v_fmac_f32_e32 v34, v31, v33
	v_and_b32_e32 v31, 0xff, v50
	v_and_b32_e32 v33, 0xff, v53
	v_lshl_add_u32 v56, v29, 3, v24
	v_lshlrev_b32_e32 v50, 3, v35
	v_sub_f32_e32 v44, v52, v32
	v_lshl_add_u32 v53, v31, 3, v24
	v_lshl_add_u32 v55, v33, 3, v24
	s_waitcnt lgkmcnt(1)
	v_sub_f32_e32 v41, v39, v41
	s_waitcnt vmcnt(1) lgkmcnt(0)
	v_mul_f32_e32 v29, v15, v46
	v_mul_f32_e32 v31, v14, v46
	s_waitcnt vmcnt(0)
	v_mul_f32_e32 v33, v17, v48
	v_mul_f32_e32 v35, v16, v48
	v_mov_b32_e32 v21, 0
	v_fma_f32 v14, v14, v45, -v29
	v_fmac_f32_e32 v31, v15, v45
	v_fma_f32 v15, v16, v47, -v33
	v_fmac_f32_e32 v35, v17, v47
	v_sub_f32_e32 v33, v37, v62
	v_sub_f32_e32 v16, v61, v43
	v_sub_f32_e32 v17, v59, v54
	v_sub_f32_e32 v43, v51, v63
	v_sub_f32_e32 v29, v49, v14
	v_sub_f32_e32 v31, v64, v31
	v_sub_f32_e32 v45, v40, v36
	v_sub_f32_e32 v32, v30, v15
	v_sub_f32_e32 v35, v34, v35
	v_fma_f32 v46, v37, 2.0, -v33
	v_fma_f32 v47, v38, 2.0, -v42
	;; [unrolled: 1-line block ×12, first 2 shown]
	v_mul_i32_i24_e32 v20, 3, v57
	v_sub_f32_e32 v14, v33, v17
	v_add_f32_e32 v15, v42, v16
	v_sub_f32_e32 v16, v43, v31
	v_add_f32_e32 v17, v44, v29
	v_add_f32_e32 v30, v45, v32
	v_sub_f32_e32 v31, v46, v36
	v_sub_f32_e32 v32, v47, v37
	;; [unrolled: 1-line block ×7, first 2 shown]
	v_lshlrev_b64 v[20:21], 3, v[20:21]
	v_fma_f32 v33, v33, 2.0, -v14
	v_fma_f32 v34, v42, 2.0, -v15
	;; [unrolled: 1-line block ×12, first 2 shown]
	s_barrier
	buffer_gl0_inv
	ds_write2_b64 v53, v[31:32], v[14:15] offset0:12 offset1:18
	ds_write2_b64 v53, v[43:44], v[33:34] offset1:6
	ds_write2_b64 v55, v[45:46], v[37:38] offset1:6
	ds_write2_b64 v55, v[35:36], v[16:17] offset0:12 offset1:18
	ds_write2_b64 v56, v[47:48], v[41:42] offset1:6
	ds_write2_b64 v56, v[39:40], v[29:30] offset0:12 offset1:18
	s_waitcnt lgkmcnt(0)
	s_barrier
	buffer_gl0_inv
	global_load_dwordx4 v[14:17], v50, s[8:9] offset:144
	v_add_co_u32 v20, s0, s8, v20
	v_add_co_ci_u32_e64 v21, s0, s9, v21, s0
	s_clause 0x4
	global_load_dwordx4 v[29:32], v[20:21], off offset:144
	global_load_dwordx2 v[45:46], v50, s[8:9] offset:160
	global_load_dwordx4 v[33:36], v50, s[8:9] offset:336
	global_load_dwordx2 v[20:21], v[20:21], off offset:160
	global_load_dwordx2 v[47:48], v50, s[8:9] offset:352
	ds_read_b64 v[49:50], v27
	ds_read2_b64 v[37:40], v18 offset0:96 offset1:112
	ds_read_b64 v[51:52], v26
	ds_read_b64 v[53:54], v19
	ds_read2_b64 v[41:44], v18 offset0:128 offset1:144
	ds_read_b64 v[55:56], v23
	v_cmp_lt_u32_e64 s0, 23, v4
	v_cndmask_b32_e64 v63, 0, 0x60, s0
	s_waitcnt vmcnt(5) lgkmcnt(5)
	v_mul_f32_e32 v58, v15, v50
	v_mul_f32_e32 v59, v15, v49
	s_waitcnt lgkmcnt(4)
	v_mul_f32_e32 v15, v17, v38
	v_mul_f32_e32 v60, v17, v37
	s_waitcnt vmcnt(4)
	v_mul_f32_e32 v17, v32, v40
	v_fma_f32 v58, v14, v49, -v58
	v_fmac_f32_e32 v59, v14, v50
	ds_read_b64 v[49:50], v25
	v_mul_f32_e32 v61, v32, v39
	v_fma_f32 v62, v16, v37, -v15
	v_lshlrev_b64 v[14:15], 3, v[0:1]
	s_waitcnt lgkmcnt(4)
	v_mul_f32_e32 v1, v30, v52
	v_mul_f32_e32 v65, v30, v51
	v_fma_f32 v64, v31, v39, -v17
	v_fmac_f32_e32 v61, v31, v40
	v_fmac_f32_e32 v60, v16, v38
	v_fma_f32 v1, v29, v51, -v1
	v_fmac_f32_e32 v65, v29, v52
	ds_read2_b64 v[29:32], v18 offset0:160 offset1:176
	v_lshlrev_b64 v[37:38], 3, v[4:5]
	v_lshlrev_b64 v[39:40], 3, v[12:13]
	s_waitcnt vmcnt(2) lgkmcnt(3)
	v_mul_f32_e32 v12, v42, v36
	v_add_co_u32 v16, s0, s8, v14
	v_add_co_ci_u32_e64 v17, s0, s9, v15, s0
	ds_read_b64 v[14:15], v28
	v_mul_f32_e32 v51, v41, v36
	v_fma_f32 v41, v41, v35, -v12
	v_add_co_u32 v12, s0, s8, v37
	v_add_co_ci_u32_e64 v13, s0, s9, v38, s0
	v_or_b32_e32 v37, v63, v57
	s_waitcnt lgkmcnt(2)
	v_mul_f32_e32 v38, v50, v34
	v_mul_f32_e32 v34, v49, v34
	;; [unrolled: 1-line block ×4, first 2 shown]
	v_lshl_add_u32 v52, v37, 3, v24
	v_fma_f32 v37, v49, v33, -v38
	v_fmac_f32_e32 v34, v50, v33
	s_waitcnt vmcnt(1) lgkmcnt(1)
	v_mul_f32_e32 v33, v30, v21
	v_mul_f32_e32 v21, v29, v21
	v_fmac_f32_e32 v51, v42, v35
	v_lshlrev_b64 v[35:36], 3, v[10:11]
	v_add_co_u32 v10, s0, s8, v39
	s_waitcnt vmcnt(0)
	v_mul_f32_e32 v38, v32, v48
	v_mul_f32_e32 v39, v31, v48
	v_fma_f32 v5, v45, v43, -v5
	v_fmac_f32_e32 v46, v45, v44
	v_fma_f32 v29, v29, v20, -v33
	v_fmac_f32_e32 v21, v30, v20
	;; [unrolled: 2-line block ×3, first 2 shown]
	v_sub_f32_e32 v33, v55, v62
	v_sub_f32_e32 v38, v56, v60
	;; [unrolled: 1-line block ×4, first 2 shown]
	v_add_co_ci_u32_e64 v11, s0, s9, v40, s0
	v_sub_f32_e32 v40, v53, v64
	v_sub_f32_e32 v42, v54, v61
	;; [unrolled: 1-line block ×4, first 2 shown]
	s_waitcnt lgkmcnt(0)
	v_sub_f32_e32 v43, v14, v41
	v_sub_f32_e32 v44, v15, v51
	;; [unrolled: 1-line block ×4, first 2 shown]
	v_fma_f32 v45, v55, 2.0, -v33
	v_fma_f32 v46, v56, 2.0, -v38
	;; [unrolled: 1-line block ×4, first 2 shown]
	v_add_f32_e32 v21, v38, v5
	v_fma_f32 v5, v53, 2.0, -v40
	v_fma_f32 v48, v54, 2.0, -v42
	;; [unrolled: 1-line block ×4, first 2 shown]
	v_sub_f32_e32 v20, v33, v30
	v_sub_f32_e32 v29, v40, v29
	v_add_f32_e32 v30, v42, v31
	v_fma_f32 v50, v14, 2.0, -v43
	v_fma_f32 v51, v15, 2.0, -v44
	;; [unrolled: 1-line block ×4, first 2 shown]
	v_add_f32_e32 v15, v44, v32
	v_sub_f32_e32 v31, v45, v41
	v_sub_f32_e32 v32, v46, v47
	v_fma_f32 v34, v38, 2.0, -v21
	v_sub_f32_e32 v37, v5, v1
	v_sub_f32_e32 v38, v48, v49
	;; [unrolled: 1-line block ×3, first 2 shown]
	v_fma_f32 v39, v40, 2.0, -v29
	v_fma_f32 v40, v42, 2.0, -v30
	v_sub_f32_e32 v41, v50, v53
	v_sub_f32_e32 v42, v51, v54
	v_fma_f32 v33, v33, 2.0, -v20
	v_fma_f32 v45, v45, 2.0, -v31
	;; [unrolled: 1-line block ×9, first 2 shown]
	s_barrier
	buffer_gl0_inv
	ds_write2_b64 v18, v[31:32], v[20:21] offset0:48 offset1:72
	ds_write2_b64 v18, v[45:46], v[33:34] offset1:24
	ds_write2_b64 v52, v[47:48], v[39:40] offset1:24
	ds_write2_b64 v52, v[37:38], v[29:30] offset0:48 offset1:72
	ds_write2_b64 v18, v[49:50], v[43:44] offset0:104 offset1:128
	;; [unrolled: 1-line block ×3, first 2 shown]
	s_waitcnt lgkmcnt(0)
	s_barrier
	buffer_gl0_inv
	s_clause 0x2
	global_load_dwordx2 v[20:21], v[16:17], off offset:720
	global_load_dwordx2 v[41:42], v[12:13], off offset:720
	;; [unrolled: 1-line block ×3, first 2 shown]
	v_add_co_u32 v14, s0, s8, v35
	v_lshlrev_b64 v[5:6], 3, v[6:7]
	v_add_co_ci_u32_e64 v15, s0, s9, v36, s0
	v_add_co_u32 v7, s0, s8, v8
	v_add_co_ci_u32_e64 v8, s0, s9, v9, s0
	global_load_dwordx2 v[45:46], v[14:15], off offset:720
	v_add_co_u32 v5, s0, s8, v5
	v_add_co_ci_u32_e64 v6, s0, s9, v6, s0
	s_clause 0x1
	global_load_dwordx2 v[47:48], v[7:8], off offset:720
	global_load_dwordx2 v[49:50], v[5:6], off offset:720
	ds_read2_b64 v[29:32], v18 offset0:96 offset1:112
	ds_read2_b64 v[33:36], v18 offset0:128 offset1:144
	ds_read_b64 v[51:52], v23
	ds_read_b64 v[53:54], v28
	;; [unrolled: 1-line block ×3, first 2 shown]
	ds_read2_b64 v[37:40], v18 offset0:160 offset1:176
	v_cmp_ne_u32_e64 s0, 0, v0
	s_waitcnt vmcnt(5) lgkmcnt(5)
	v_mul_f32_e32 v1, v21, v30
	v_mul_f32_e32 v9, v21, v29
	s_waitcnt vmcnt(4)
	v_mul_f32_e32 v21, v42, v32
	v_mul_f32_e32 v42, v42, v31
	s_waitcnt vmcnt(3) lgkmcnt(4)
	v_mul_f32_e32 v57, v44, v34
	v_fma_f32 v1, v20, v29, -v1
	v_fmac_f32_e32 v9, v20, v30
	v_fma_f32 v58, v41, v31, -v21
	v_fmac_f32_e32 v42, v41, v32
	ds_read_b64 v[20:21], v19
	ds_read_b64 v[29:30], v27
	;; [unrolled: 1-line block ×3, first 2 shown]
	v_mul_f32_e32 v44, v44, v33
	v_fma_f32 v57, v43, v33, -v57
	s_waitcnt vmcnt(2)
	v_mul_f32_e32 v41, v46, v36
	s_waitcnt vmcnt(0) lgkmcnt(0)
	s_barrier
	v_fmac_f32_e32 v44, v43, v34
	v_mul_f32_e32 v43, v46, v35
	v_fma_f32 v41, v45, v35, -v41
	v_mul_f32_e32 v33, v48, v38
	v_mul_f32_e32 v34, v40, v50
	;; [unrolled: 1-line block ×3, first 2 shown]
	v_fmac_f32_e32 v43, v45, v36
	v_mul_f32_e32 v45, v48, v37
	v_fma_f32 v48, v47, v37, -v33
	v_sub_f32_e32 v33, v51, v1
	v_fmac_f32_e32 v46, v40, v49
	v_sub_f32_e32 v37, v53, v57
	v_fmac_f32_e32 v45, v47, v38
	v_fma_f32 v47, v39, v49, -v34
	v_sub_f32_e32 v34, v52, v9
	v_sub_f32_e32 v35, v20, v58
	;; [unrolled: 1-line block ×10, first 2 shown]
	v_fma_f32 v45, v51, 2.0, -v33
	v_fma_f32 v46, v52, 2.0, -v34
	;; [unrolled: 1-line block ×10, first 2 shown]
	buffer_gl0_inv
	v_fma_f32 v31, v31, 2.0, -v43
	v_fma_f32 v32, v32, 2.0, -v44
	ds_write2_b64 v18, v[45:46], v[33:34] offset1:96
	ds_write2_b64 v19, v[20:21], v[35:36] offset1:96
	ds_write2_b64 v28, v[47:48], v[37:38] offset1:96
	ds_write2_b64 v27, v[29:30], v[39:40] offset1:96
	ds_write2_b64 v26, v[49:50], v[41:42] offset1:96
	ds_write2_b64 v25, v[31:32], v[43:44] offset1:96
	s_waitcnt lgkmcnt(0)
	s_barrier
	buffer_gl0_inv
	ds_read_b64 v[20:21], v23
	v_sub_nc_u32_e32 v1, v24, v22
                                        ; implicit-def: $vgpr18
                                        ; implicit-def: $vgpr9
                                        ; implicit-def: $vgpr29
	s_and_saveexec_b32 s1, s0
	s_xor_b32 s0, exec_lo, s1
	s_cbranch_execz .LBB0_15
; %bb.14:
	global_load_dwordx2 v[16:17], v[16:17], off offset:1488
	ds_read_b64 v[18:19], v1 offset:1536
	s_waitcnt lgkmcnt(0)
	v_sub_f32_e32 v9, v20, v18
	v_add_f32_e32 v29, v19, v21
	v_sub_f32_e32 v19, v21, v19
	v_add_f32_e32 v18, v18, v20
	v_mul_f32_e32 v21, 0.5, v9
	v_mul_f32_e32 v20, 0.5, v29
	;; [unrolled: 1-line block ×3, first 2 shown]
	s_waitcnt vmcnt(0)
	v_mul_f32_e32 v29, v17, v21
	v_fma_f32 v30, v20, v17, v19
	v_fma_f32 v17, v20, v17, -v19
	v_fma_f32 v9, 0.5, v18, v29
	v_fma_f32 v18, v18, 0.5, -v29
	v_fma_f32 v29, -v16, v21, v30
	v_fma_f32 v19, -v16, v21, v17
	v_fmac_f32_e32 v9, v16, v20
	v_fma_f32 v18, -v16, v20, v18
                                        ; implicit-def: $vgpr20_vgpr21
.LBB0_15:
	s_andn2_saveexec_b32 s0, s0
	s_cbranch_execz .LBB0_17
; %bb.16:
	ds_read_b32 v16, v24 offset:772
	s_waitcnt lgkmcnt(1)
	v_add_f32_e32 v9, v20, v21
	v_sub_f32_e32 v18, v20, v21
	v_mov_b32_e32 v29, 0
	v_mov_b32_e32 v19, 0
	s_waitcnt lgkmcnt(0)
	v_xor_b32_e32 v16, 0x80000000, v16
	ds_write_b32 v24, v16 offset:772
.LBB0_17:
	s_or_b32 exec_lo, exec_lo, s0
	s_clause 0x4
	global_load_dwordx2 v[12:13], v[12:13], off offset:1488
	global_load_dwordx2 v[10:11], v[10:11], off offset:1488
	;; [unrolled: 1-line block ×5, first 2 shown]
	v_lshl_add_u32 v4, v4, 3, v24
	ds_write2_b32 v23, v9, v29 offset1:1
	ds_write_b64 v1, v[18:19] offset:1536
	ds_read_b64 v[16:17], v4
	ds_read_b64 v[18:19], v1 offset:1408
	s_waitcnt lgkmcnt(0)
	v_sub_f32_e32 v9, v16, v18
	v_add_f32_e32 v20, v17, v19
	v_sub_f32_e32 v17, v17, v19
	v_add_f32_e32 v16, v16, v18
	v_mul_f32_e32 v9, 0.5, v9
	v_mul_f32_e32 v19, 0.5, v20
	v_mul_f32_e32 v17, 0.5, v17
	s_waitcnt vmcnt(4)
	v_mul_f32_e32 v18, v13, v9
	v_fma_f32 v20, v19, v13, v17
	v_fma_f32 v13, v19, v13, -v17
	v_fma_f32 v17, 0.5, v16, v18
	v_fma_f32 v16, v16, 0.5, -v18
	v_fma_f32 v18, -v12, v9, v20
	v_fma_f32 v13, -v12, v9, v13
	v_fmac_f32_e32 v17, v12, v19
	v_fma_f32 v12, -v12, v19, v16
	ds_write2_b32 v4, v17, v18 offset1:1
	ds_write_b64 v1, v[12:13] offset:1408
	ds_read_b64 v[12:13], v28
	ds_read_b64 v[16:17], v1 offset:1280
	s_waitcnt lgkmcnt(0)
	v_sub_f32_e32 v4, v12, v16
	v_add_f32_e32 v9, v13, v17
	v_sub_f32_e32 v13, v13, v17
	v_add_f32_e32 v12, v12, v16
	v_mul_f32_e32 v4, 0.5, v4
	v_mul_f32_e32 v9, 0.5, v9
	v_mul_f32_e32 v13, 0.5, v13
	s_waitcnt vmcnt(3)
	v_mul_f32_e32 v16, v11, v4
	v_fma_f32 v17, v9, v11, v13
	v_fma_f32 v11, v9, v11, -v13
	v_fma_f32 v13, 0.5, v12, v16
	v_fma_f32 v12, v12, 0.5, -v16
	v_fma_f32 v16, -v10, v4, v17
	v_fma_f32 v11, -v10, v4, v11
	v_fmac_f32_e32 v13, v10, v9
	v_fma_f32 v10, -v10, v9, v12
	;; [unrolled: 22-line block ×5, first 2 shown]
	ds_write2_b32 v25, v8, v9 offset1:1
	ds_write_b64 v1, v[5:6] offset:896
	s_waitcnt lgkmcnt(0)
	s_barrier
	buffer_gl0_inv
	s_and_saveexec_b32 s0, vcc_lo
	s_cbranch_execz .LBB0_20
; %bb.18:
	ds_read2_b64 v[4:7], v23 offset1:16
	ds_read2_b64 v[8:11], v23 offset0:32 offset1:48
	ds_read2_b64 v[12:15], v23 offset0:64 offset1:80
	;; [unrolled: 1-line block ×5, first 2 shown]
	v_add_co_u32 v1, vcc_lo, s2, v2
	v_add_co_ci_u32_e32 v2, vcc_lo, s3, v3, vcc_lo
	v_add_co_u32 v20, vcc_lo, v1, v22
	v_add_co_ci_u32_e32 v21, vcc_lo, 0, v2, vcc_lo
	v_cmp_eq_u32_e32 vcc_lo, 15, v0
	s_waitcnt lgkmcnt(5)
	global_store_dwordx2 v[20:21], v[4:5], off
	global_store_dwordx2 v[20:21], v[6:7], off offset:128
	s_waitcnt lgkmcnt(4)
	global_store_dwordx2 v[20:21], v[8:9], off offset:256
	global_store_dwordx2 v[20:21], v[10:11], off offset:384
	s_waitcnt lgkmcnt(3)
	global_store_dwordx2 v[20:21], v[12:13], off offset:512
	;; [unrolled: 3-line block ×5, first 2 shown]
	global_store_dwordx2 v[20:21], v[30:31], off offset:1408
	s_and_b32 exec_lo, exec_lo, vcc_lo
	s_cbranch_execz .LBB0_20
; %bb.19:
	ds_read_b64 v[3:4], v23 offset:1416
	s_waitcnt lgkmcnt(0)
	global_store_dwordx2 v[1:2], v[3:4], off offset:1536
.LBB0_20:
	s_endpgm
	.section	.rodata,"a",@progbits
	.p2align	6, 0x0
	.amdhsa_kernel fft_rtc_fwd_len192_factors_6_4_4_2_wgs_128_tpt_16_halfLds_sp_ip_CI_unitstride_sbrr_R2C_dirReg
		.amdhsa_group_segment_fixed_size 0
		.amdhsa_private_segment_fixed_size 0
		.amdhsa_kernarg_size 88
		.amdhsa_user_sgpr_count 6
		.amdhsa_user_sgpr_private_segment_buffer 1
		.amdhsa_user_sgpr_dispatch_ptr 0
		.amdhsa_user_sgpr_queue_ptr 0
		.amdhsa_user_sgpr_kernarg_segment_ptr 1
		.amdhsa_user_sgpr_dispatch_id 0
		.amdhsa_user_sgpr_flat_scratch_init 0
		.amdhsa_user_sgpr_private_segment_size 0
		.amdhsa_wavefront_size32 1
		.amdhsa_uses_dynamic_stack 0
		.amdhsa_system_sgpr_private_segment_wavefront_offset 0
		.amdhsa_system_sgpr_workgroup_id_x 1
		.amdhsa_system_sgpr_workgroup_id_y 0
		.amdhsa_system_sgpr_workgroup_id_z 0
		.amdhsa_system_sgpr_workgroup_info 0
		.amdhsa_system_vgpr_workitem_id 0
		.amdhsa_next_free_vgpr 66
		.amdhsa_next_free_sgpr 21
		.amdhsa_reserve_vcc 1
		.amdhsa_reserve_flat_scratch 0
		.amdhsa_float_round_mode_32 0
		.amdhsa_float_round_mode_16_64 0
		.amdhsa_float_denorm_mode_32 3
		.amdhsa_float_denorm_mode_16_64 3
		.amdhsa_dx10_clamp 1
		.amdhsa_ieee_mode 1
		.amdhsa_fp16_overflow 0
		.amdhsa_workgroup_processor_mode 1
		.amdhsa_memory_ordered 1
		.amdhsa_forward_progress 0
		.amdhsa_shared_vgpr_count 0
		.amdhsa_exception_fp_ieee_invalid_op 0
		.amdhsa_exception_fp_denorm_src 0
		.amdhsa_exception_fp_ieee_div_zero 0
		.amdhsa_exception_fp_ieee_overflow 0
		.amdhsa_exception_fp_ieee_underflow 0
		.amdhsa_exception_fp_ieee_inexact 0
		.amdhsa_exception_int_div_zero 0
	.end_amdhsa_kernel
	.text
.Lfunc_end0:
	.size	fft_rtc_fwd_len192_factors_6_4_4_2_wgs_128_tpt_16_halfLds_sp_ip_CI_unitstride_sbrr_R2C_dirReg, .Lfunc_end0-fft_rtc_fwd_len192_factors_6_4_4_2_wgs_128_tpt_16_halfLds_sp_ip_CI_unitstride_sbrr_R2C_dirReg
                                        ; -- End function
	.section	.AMDGPU.csdata,"",@progbits
; Kernel info:
; codeLenInByte = 5788
; NumSgprs: 23
; NumVgprs: 66
; ScratchSize: 0
; MemoryBound: 0
; FloatMode: 240
; IeeeMode: 1
; LDSByteSize: 0 bytes/workgroup (compile time only)
; SGPRBlocks: 2
; VGPRBlocks: 8
; NumSGPRsForWavesPerEU: 23
; NumVGPRsForWavesPerEU: 66
; Occupancy: 12
; WaveLimiterHint : 1
; COMPUTE_PGM_RSRC2:SCRATCH_EN: 0
; COMPUTE_PGM_RSRC2:USER_SGPR: 6
; COMPUTE_PGM_RSRC2:TRAP_HANDLER: 0
; COMPUTE_PGM_RSRC2:TGID_X_EN: 1
; COMPUTE_PGM_RSRC2:TGID_Y_EN: 0
; COMPUTE_PGM_RSRC2:TGID_Z_EN: 0
; COMPUTE_PGM_RSRC2:TIDIG_COMP_CNT: 0
	.text
	.p2alignl 6, 3214868480
	.fill 48, 4, 3214868480
	.type	__hip_cuid_51d465a805eced18,@object ; @__hip_cuid_51d465a805eced18
	.section	.bss,"aw",@nobits
	.globl	__hip_cuid_51d465a805eced18
__hip_cuid_51d465a805eced18:
	.byte	0                               ; 0x0
	.size	__hip_cuid_51d465a805eced18, 1

	.ident	"AMD clang version 19.0.0git (https://github.com/RadeonOpenCompute/llvm-project roc-6.4.0 25133 c7fe45cf4b819c5991fe208aaa96edf142730f1d)"
	.section	".note.GNU-stack","",@progbits
	.addrsig
	.addrsig_sym __hip_cuid_51d465a805eced18
	.amdgpu_metadata
---
amdhsa.kernels:
  - .args:
      - .actual_access:  read_only
        .address_space:  global
        .offset:         0
        .size:           8
        .value_kind:     global_buffer
      - .offset:         8
        .size:           8
        .value_kind:     by_value
      - .actual_access:  read_only
        .address_space:  global
        .offset:         16
        .size:           8
        .value_kind:     global_buffer
      - .actual_access:  read_only
        .address_space:  global
        .offset:         24
        .size:           8
        .value_kind:     global_buffer
      - .offset:         32
        .size:           8
        .value_kind:     by_value
      - .actual_access:  read_only
        .address_space:  global
        .offset:         40
        .size:           8
        .value_kind:     global_buffer
      - .actual_access:  read_only
        .address_space:  global
        .offset:         48
        .size:           8
        .value_kind:     global_buffer
      - .offset:         56
        .size:           4
        .value_kind:     by_value
      - .actual_access:  read_only
        .address_space:  global
        .offset:         64
        .size:           8
        .value_kind:     global_buffer
      - .actual_access:  read_only
        .address_space:  global
        .offset:         72
        .size:           8
        .value_kind:     global_buffer
      - .address_space:  global
        .offset:         80
        .size:           8
        .value_kind:     global_buffer
    .group_segment_fixed_size: 0
    .kernarg_segment_align: 8
    .kernarg_segment_size: 88
    .language:       OpenCL C
    .language_version:
      - 2
      - 0
    .max_flat_workgroup_size: 128
    .name:           fft_rtc_fwd_len192_factors_6_4_4_2_wgs_128_tpt_16_halfLds_sp_ip_CI_unitstride_sbrr_R2C_dirReg
    .private_segment_fixed_size: 0
    .sgpr_count:     23
    .sgpr_spill_count: 0
    .symbol:         fft_rtc_fwd_len192_factors_6_4_4_2_wgs_128_tpt_16_halfLds_sp_ip_CI_unitstride_sbrr_R2C_dirReg.kd
    .uniform_work_group_size: 1
    .uses_dynamic_stack: false
    .vgpr_count:     66
    .vgpr_spill_count: 0
    .wavefront_size: 32
    .workgroup_processor_mode: 1
amdhsa.target:   amdgcn-amd-amdhsa--gfx1030
amdhsa.version:
  - 1
  - 2
...

	.end_amdgpu_metadata
